;; amdgpu-corpus repo=ROCm/rocFFT kind=compiled arch=gfx906 opt=O3
	.text
	.amdgcn_target "amdgcn-amd-amdhsa--gfx906"
	.amdhsa_code_object_version 6
	.protected	bluestein_single_back_len294_dim1_sp_op_CI_CI ; -- Begin function bluestein_single_back_len294_dim1_sp_op_CI_CI
	.globl	bluestein_single_back_len294_dim1_sp_op_CI_CI
	.p2align	8
	.type	bluestein_single_back_len294_dim1_sp_op_CI_CI,@function
bluestein_single_back_len294_dim1_sp_op_CI_CI: ; @bluestein_single_back_len294_dim1_sp_op_CI_CI
; %bb.0:
	v_mul_u32_u24_e32 v1, 0x619, v0
	s_load_dwordx4 s[8:11], s[4:5], 0x28
	v_lshrrev_b32_e32 v1, 16, v1
	v_mad_u64_u32 v[48:49], s[0:1], s6, 3, v[1:2]
	v_mov_b32_e32 v49, 0
	s_waitcnt lgkmcnt(0)
	v_cmp_gt_u64_e32 vcc, s[8:9], v[48:49]
	s_and_saveexec_b64 s[0:1], vcc
	s_cbranch_execz .LBB0_15
; %bb.1:
	s_load_dwordx4 s[12:15], s[4:5], 0x18
	v_mul_lo_u16_e32 v1, 42, v1
	v_sub_u16_e32 v64, v0, v1
	v_lshlrev_b32_e32 v34, 3, v64
	s_waitcnt lgkmcnt(0)
	s_load_dwordx4 s[0:3], s[12:13], 0x0
	s_waitcnt lgkmcnt(0)
	v_mad_u64_u32 v[0:1], s[6:7], s2, v48, 0
	v_mad_u64_u32 v[2:3], s[6:7], s0, v64, 0
	s_load_dwordx2 s[6:7], s[4:5], 0x0
	v_mad_u64_u32 v[4:5], s[2:3], s3, v48, v[1:2]
	s_waitcnt lgkmcnt(0)
	s_nop 1
	global_load_dwordx2 v[57:58], v34, s[6:7]
	v_mad_u64_u32 v[5:6], s[2:3], s1, v64, v[3:4]
	v_mov_b32_e32 v1, v4
	v_lshlrev_b64 v[0:1], 3, v[0:1]
	v_mov_b32_e32 v6, s11
	v_mov_b32_e32 v3, v5
	v_add_co_u32_e32 v4, vcc, s10, v0
	v_addc_co_u32_e32 v5, vcc, v6, v1, vcc
	v_lshlrev_b64 v[0:1], 3, v[2:3]
	s_mul_i32 s2, s1, 49
	s_mul_hi_u32 s3, s0, 49
	v_add_co_u32_e32 v0, vcc, v4, v0
	s_add_i32 s3, s3, s2
	s_mul_i32 s2, s0, 49
	v_addc_co_u32_e32 v1, vcc, v5, v1, vcc
	s_lshl_b64 s[12:13], s[2:3], 3
	global_load_dwordx2 v[2:3], v[0:1], off
	v_mov_b32_e32 v12, s13
	v_add_co_u32_e32 v0, vcc, s12, v0
	v_addc_co_u32_e32 v1, vcc, v1, v12, vcc
	global_load_dwordx2 v[4:5], v[0:1], off
	v_add_co_u32_e32 v0, vcc, s12, v0
	v_addc_co_u32_e32 v1, vcc, v1, v12, vcc
	v_add_co_u32_e32 v6, vcc, s12, v0
	v_addc_co_u32_e32 v7, vcc, v1, v12, vcc
	global_load_dwordx2 v[59:60], v34, s[6:7] offset:392
	global_load_dwordx2 v[55:56], v34, s[6:7] offset:784
	global_load_dwordx2 v[8:9], v[0:1], off
	global_load_dwordx2 v[10:11], v[6:7], off
	global_load_dwordx2 v[53:54], v34, s[6:7] offset:1176
	v_add_co_u32_e32 v0, vcc, s12, v6
	v_addc_co_u32_e32 v1, vcc, v7, v12, vcc
	global_load_dwordx2 v[6:7], v[0:1], off
	global_load_dwordx2 v[51:52], v34, s[6:7] offset:1568
	v_add_co_u32_e32 v0, vcc, s12, v0
	v_addc_co_u32_e32 v1, vcc, v1, v12, vcc
	global_load_dwordx2 v[49:50], v34, s[6:7] offset:1960
	global_load_dwordx2 v[12:13], v[0:1], off
	s_mov_b32 s2, 0xaaaaaaab
	v_mul_hi_u32 v14, v48, s2
	v_mov_b32_e32 v15, s7
	v_add_co_u32_e32 v46, vcc, s6, v34
	v_lshrrev_b32_e32 v14, 1, v14
	v_lshl_add_u32 v14, v14, 1, v14
	v_sub_u32_e32 v14, v48, v14
	v_mul_u32_u24_e32 v14, 0x126, v14
	v_addc_co_u32_e32 v47, vcc, 0, v15, vcc
	v_lshlrev_b32_e32 v65, 3, v14
	s_load_dwordx2 s[2:3], s[4:5], 0x38
	s_load_dwordx4 s[8:11], s[14:15], 0x0
	v_add_u32_e32 v63, v34, v65
	v_cmp_gt_u16_e32 vcc, 7, v64
	s_waitcnt vmcnt(10)
	v_mul_f32_e32 v14, v3, v58
	v_mul_f32_e32 v15, v2, v58
	v_fmac_f32_e32 v14, v2, v57
	v_fma_f32 v15, v3, v57, -v15
	s_waitcnt vmcnt(8)
	v_mul_f32_e32 v2, v5, v60
	v_mul_f32_e32 v3, v4, v60
	v_fmac_f32_e32 v2, v4, v59
	v_fma_f32 v3, v5, v59, -v3
	s_waitcnt vmcnt(6)
	v_mul_f32_e32 v4, v9, v56
	v_mul_f32_e32 v5, v8, v56
	ds_write2_b64 v63, v[14:15], v[2:3] offset1:49
	s_waitcnt vmcnt(4)
	v_mul_f32_e32 v2, v11, v54
	v_mul_f32_e32 v3, v10, v54
	v_fmac_f32_e32 v4, v8, v55
	v_fma_f32 v5, v9, v55, -v5
	v_fmac_f32_e32 v2, v10, v53
	v_fma_f32 v3, v11, v53, -v3
	s_waitcnt vmcnt(2)
	v_mul_f32_e32 v8, v7, v52
	v_mul_f32_e32 v9, v6, v52
	ds_write2_b64 v63, v[4:5], v[2:3] offset0:98 offset1:147
	s_waitcnt vmcnt(0)
	v_mul_f32_e32 v2, v13, v50
	v_mul_f32_e32 v3, v12, v50
	v_fmac_f32_e32 v8, v6, v51
	v_fma_f32 v9, v7, v51, -v9
	v_fmac_f32_e32 v2, v12, v49
	v_fma_f32 v3, v13, v49, -v3
	ds_write2_b64 v63, v[8:9], v[2:3] offset0:196 offset1:245
	s_and_saveexec_b64 s[14:15], vcc
	s_cbranch_execz .LBB0_3
; %bb.2:
	v_mov_b32_e32 v2, 0xfffff9a8
	v_mad_u64_u32 v[0:1], s[16:17], s0, v2, v[0:1]
	s_mulk_i32 s1, 0xf9a8
	s_sub_i32 s0, s1, s0
	v_add_u32_e32 v1, s0, v1
	global_load_dwordx2 v[2:3], v[0:1], off
	v_mov_b32_e32 v22, s13
	v_add_co_u32_e64 v0, s[0:1], s12, v0
	v_addc_co_u32_e64 v1, s[0:1], v1, v22, s[0:1]
	global_load_dwordx2 v[4:5], v[0:1], off
	global_load_dwordx2 v[6:7], v[46:47], off offset:336
	global_load_dwordx2 v[8:9], v[46:47], off offset:728
	v_add_co_u32_e64 v0, s[0:1], s12, v0
	v_addc_co_u32_e64 v1, s[0:1], v1, v22, s[0:1]
	global_load_dwordx2 v[10:11], v[0:1], off
	v_add_co_u32_e64 v0, s[0:1], s12, v0
	v_addc_co_u32_e64 v1, s[0:1], v1, v22, s[0:1]
	global_load_dwordx2 v[12:13], v[46:47], off offset:1120
	global_load_dwordx2 v[14:15], v[0:1], off
	global_load_dwordx2 v[16:17], v[46:47], off offset:1512
	v_add_co_u32_e64 v0, s[0:1], s12, v0
	v_addc_co_u32_e64 v1, s[0:1], v1, v22, s[0:1]
	global_load_dwordx2 v[18:19], v[0:1], off
	global_load_dwordx2 v[20:21], v[46:47], off offset:1904
	v_add_co_u32_e64 v0, s[0:1], s12, v0
	v_addc_co_u32_e64 v1, s[0:1], v1, v22, s[0:1]
	global_load_dwordx2 v[22:23], v[46:47], off offset:2296
	global_load_dwordx2 v[24:25], v[0:1], off
	s_waitcnt vmcnt(9)
	v_mul_f32_e32 v0, v3, v7
	v_mul_f32_e32 v1, v2, v7
	v_fmac_f32_e32 v0, v2, v6
	v_fma_f32 v1, v3, v6, -v1
	s_waitcnt vmcnt(8)
	v_mul_f32_e32 v2, v5, v9
	v_mul_f32_e32 v3, v4, v9
	v_fmac_f32_e32 v2, v4, v8
	v_fma_f32 v3, v5, v8, -v3
	ds_write2_b64 v63, v[0:1], v[2:3] offset0:42 offset1:91
	s_waitcnt vmcnt(6)
	v_mul_f32_e32 v4, v11, v13
	v_mul_f32_e32 v5, v10, v13
	s_waitcnt vmcnt(4)
	v_mul_f32_e32 v0, v15, v17
	v_mul_f32_e32 v1, v14, v17
	v_fmac_f32_e32 v4, v10, v12
	v_fma_f32 v5, v11, v12, -v5
	v_fmac_f32_e32 v0, v14, v16
	v_fma_f32 v1, v15, v16, -v1
	s_waitcnt vmcnt(2)
	v_mul_f32_e32 v2, v19, v21
	v_mul_f32_e32 v3, v18, v21
	ds_write2_b64 v63, v[4:5], v[0:1] offset0:140 offset1:189
	v_fmac_f32_e32 v2, v18, v20
	s_waitcnt vmcnt(0)
	v_mul_f32_e32 v0, v25, v23
	v_mul_f32_e32 v1, v24, v23
	v_fma_f32 v3, v19, v20, -v3
	v_fmac_f32_e32 v0, v24, v22
	v_fma_f32 v1, v25, v22, -v1
	v_add_u32_e32 v4, 0x400, v63
	ds_write2_b64 v4, v[2:3], v[0:1] offset0:110 offset1:159
.LBB0_3:
	s_or_b64 exec, exec, s[14:15]
	s_waitcnt lgkmcnt(0)
	s_barrier
	ds_read2_b64 v[12:15], v63 offset1:49
	ds_read2_b64 v[16:19], v63 offset0:98 offset1:147
	ds_read2_b64 v[20:23], v63 offset0:196 offset1:245
	s_load_dwordx2 s[4:5], s[4:5], 0x8
                                        ; implicit-def: $vgpr0
                                        ; implicit-def: $vgpr4
                                        ; implicit-def: $vgpr8
	s_and_saveexec_b64 s[0:1], vcc
	s_cbranch_execz .LBB0_5
; %bb.4:
	v_add_u32_e32 v8, 0x400, v63
	ds_read2_b64 v[0:3], v63 offset0:42 offset1:91
	ds_read2_b64 v[4:7], v63 offset0:140 offset1:189
	;; [unrolled: 1-line block ×3, first 2 shown]
.LBB0_5:
	s_or_b64 exec, exec, s[0:1]
	s_waitcnt lgkmcnt(0)
	v_add_f32_e32 v24, v12, v16
	v_add_f32_e32 v29, v24, v20
	;; [unrolled: 1-line block ×3, first 2 shown]
	v_fma_f32 v12, -0.5, v24, v12
	v_sub_f32_e32 v24, v17, v21
	v_mov_b32_e32 v30, v12
	v_fmac_f32_e32 v30, 0x3f5db3d7, v24
	v_fmac_f32_e32 v12, 0xbf5db3d7, v24
	v_add_f32_e32 v24, v13, v17
	v_add_f32_e32 v17, v17, v21
	v_fma_f32 v13, -0.5, v17, v13
	v_sub_f32_e32 v16, v16, v20
	v_mov_b32_e32 v17, v13
	v_add_f32_e32 v20, v18, v22
	v_fmac_f32_e32 v17, 0xbf5db3d7, v16
	v_fmac_f32_e32 v13, 0x3f5db3d7, v16
	v_add_f32_e32 v16, v14, v18
	v_fma_f32 v14, -0.5, v20, v14
	v_add_f32_e32 v32, v24, v21
	v_sub_f32_e32 v20, v19, v23
	v_mov_b32_e32 v21, v14
	v_fmac_f32_e32 v21, 0x3f5db3d7, v20
	v_fmac_f32_e32 v14, 0xbf5db3d7, v20
	v_add_f32_e32 v20, v15, v19
	v_add_f32_e32 v19, v19, v23
	v_fmac_f32_e32 v15, -0.5, v19
	v_sub_f32_e32 v18, v18, v22
	v_mov_b32_e32 v19, v15
	v_add_f32_e32 v16, v16, v22
	v_fmac_f32_e32 v19, 0xbf5db3d7, v18
	v_fmac_f32_e32 v15, 0x3f5db3d7, v18
	v_mul_f32_e32 v22, -0.5, v14
	v_mul_f32_e32 v18, 0x3f5db3d7, v19
	v_fmac_f32_e32 v22, 0x3f5db3d7, v15
	v_fmac_f32_e32 v18, 0.5, v21
	v_add_f32_e32 v27, v12, v22
	v_sub_f32_e32 v37, v12, v22
	v_add_f32_e32 v12, v0, v4
	v_add_f32_e32 v25, v30, v18
	v_mul_f32_e32 v15, -0.5, v15
	v_sub_f32_e32 v35, v30, v18
	v_add_f32_e32 v18, v12, v8
	v_add_f32_e32 v12, v4, v8
	v_fmac_f32_e32 v15, 0xbf5db3d7, v14
	v_fmac_f32_e32 v0, -0.5, v12
	v_add_f32_e32 v28, v13, v15
	v_sub_f32_e32 v38, v13, v15
	v_sub_f32_e32 v12, v5, v9
	v_mov_b32_e32 v13, v0
	v_fmac_f32_e32 v13, 0x3f5db3d7, v12
	v_fmac_f32_e32 v0, 0xbf5db3d7, v12
	v_add_f32_e32 v12, v1, v5
	v_add_f32_e32 v5, v5, v9
	v_fmac_f32_e32 v1, -0.5, v5
	v_sub_f32_e32 v4, v4, v8
	v_mov_b32_e32 v15, v1
	v_fmac_f32_e32 v15, 0xbf5db3d7, v4
	v_fmac_f32_e32 v1, 0x3f5db3d7, v4
	v_add_f32_e32 v4, v2, v6
	v_add_f32_e32 v8, v4, v10
	;; [unrolled: 1-line block ×3, first 2 shown]
	v_fmac_f32_e32 v2, -0.5, v4
	v_sub_f32_e32 v4, v7, v11
	v_mov_b32_e32 v5, v2
	v_mul_f32_e32 v21, 0xbf5db3d7, v21
	v_fmac_f32_e32 v5, 0x3f5db3d7, v4
	v_fmac_f32_e32 v2, 0xbf5db3d7, v4
	v_add_f32_e32 v4, v3, v7
	v_fmac_f32_e32 v21, 0.5, v19
	v_add_f32_e32 v19, v12, v9
	v_add_f32_e32 v9, v4, v11
	;; [unrolled: 1-line block ×3, first 2 shown]
	v_fmac_f32_e32 v3, -0.5, v4
	v_sub_f32_e32 v4, v6, v10
	v_mov_b32_e32 v6, v3
	v_add_f32_e32 v20, v20, v23
	v_add_f32_e32 v23, v29, v16
	v_sub_f32_e32 v29, v29, v16
	v_fmac_f32_e32 v6, 0xbf5db3d7, v4
	v_fmac_f32_e32 v3, 0x3f5db3d7, v4
	v_mul_f32_e32 v16, -0.5, v2
	v_add_f32_e32 v26, v17, v21
	v_sub_f32_e32 v36, v17, v21
	v_mul_f32_e32 v7, 0x3f5db3d7, v6
	v_fmac_f32_e32 v16, 0x3f5db3d7, v3
	v_mul_f32_e32 v17, 0xbf5db3d7, v5
	v_mul_f32_e32 v3, -0.5, v3
	v_add_co_u32_e64 v31, s[0:1], 42, v64
	v_fmac_f32_e32 v7, 0.5, v5
	v_fmac_f32_e32 v17, 0.5, v6
	v_fmac_f32_e32 v3, 0xbf5db3d7, v2
	v_mul_u32_u24_e32 v22, 6, v64
	v_add_f32_e32 v24, v32, v20
	v_add_f32_e32 v4, v13, v7
	;; [unrolled: 1-line block ×5, first 2 shown]
	v_sub_f32_e32 v12, v18, v8
	v_sub_f32_e32 v14, v13, v7
	;; [unrolled: 1-line block ×6, first 2 shown]
	v_lshl_add_u32 v67, v22, 3, v65
	v_mul_u32_u24_e32 v66, 6, v31
	v_sub_f32_e32 v30, v32, v20
	s_barrier
	ds_write_b128 v67, v[23:26]
	ds_write_b128 v67, v[27:30] offset:16
	ds_write_b128 v67, v[35:38] offset:32
	s_and_saveexec_b64 s[0:1], vcc
	s_cbranch_execz .LBB0_7
; %bb.6:
	v_add_f32_e32 v3, v19, v9
	v_add_f32_e32 v2, v18, v8
	v_lshl_add_u32 v0, v66, 3, v65
	ds_write_b128 v0, v[2:5]
	ds_write_b128 v0, v[10:13] offset:16
	ds_write_b128 v0, v[14:17] offset:32
.LBB0_7:
	s_or_b64 exec, exec, s[0:1]
	s_movk_i32 s0, 0xab
	v_mul_lo_u16_sdwa v0, v64, s0 dst_sel:DWORD dst_unused:UNUSED_PAD src0_sel:BYTE_0 src1_sel:DWORD
	v_lshrrev_b16_e32 v33, 10, v0
	v_mul_lo_u16_e32 v0, 6, v33
	v_sub_u16_e32 v39, v64, v0
	v_mov_b32_e32 v0, 6
	v_mul_u32_u24_sdwa v0, v39, v0 dst_sel:DWORD dst_unused:UNUSED_PAD src0_sel:BYTE_0 src1_sel:DWORD
	v_lshlrev_b32_e32 v23, 3, v0
	s_waitcnt lgkmcnt(0)
	s_barrier
	global_load_dwordx4 v[18:21], v23, s[4:5]
	global_load_dwordx4 v[6:9], v23, s[4:5] offset:16
	global_load_dwordx4 v[0:3], v23, s[4:5] offset:32
	ds_read2_b64 v[23:26], v63 offset1:42
	ds_read2_b64 v[27:30], v63 offset0:84 offset1:126
	ds_read2_b64 v[35:38], v63 offset0:168 offset1:210
	ds_read_b64 v[31:32], v63 offset:2016
	s_mov_b32 s12, 0x3f3bfb3b
	s_mov_b32 s1, 0xbf3bfb3b
	;; [unrolled: 1-line block ×4, first 2 shown]
	v_mul_u32_u24_e32 v33, 42, v33
	v_add_u32_sdwa v33, v33, v39 dst_sel:DWORD dst_unused:UNUSED_PAD src0_sel:DWORD src1_sel:BYTE_0
	s_waitcnt vmcnt(0) lgkmcnt(0)
	s_barrier
	s_add_u32 s6, s6, 0x930
	s_addc_u32 s7, s7, 0
	v_mul_f32_e32 v40, v26, v19
	v_mul_f32_e32 v41, v25, v19
	v_mul_f32_e32 v42, v28, v21
	v_mul_f32_e32 v43, v27, v21
	v_mul_f32_e32 v44, v30, v7
	v_mul_f32_e32 v45, v29, v7
	v_mul_f32_e32 v68, v38, v1
	v_mul_f32_e32 v69, v37, v1
	v_mul_f32_e32 v70, v32, v3
	v_mul_f32_e32 v71, v31, v3
	v_mul_f32_e32 v61, v36, v9
	v_mul_f32_e32 v62, v35, v9
	v_fma_f32 v25, v25, v18, -v40
	v_fmac_f32_e32 v41, v26, v18
	v_fma_f32 v26, v27, v20, -v42
	v_fmac_f32_e32 v43, v28, v20
	;; [unrolled: 2-line block ×6, first 2 shown]
	v_add_f32_e32 v31, v25, v30
	v_add_f32_e32 v32, v41, v71
	;; [unrolled: 1-line block ×4, first 2 shown]
	v_sub_f32_e32 v25, v25, v30
	v_sub_f32_e32 v30, v41, v71
	v_add_f32_e32 v37, v27, v28
	v_add_f32_e32 v38, v45, v62
	;; [unrolled: 1-line block ×4, first 2 shown]
	v_sub_f32_e32 v26, v26, v29
	v_sub_f32_e32 v29, v43, v69
	;; [unrolled: 1-line block ×10, first 2 shown]
	v_add_f32_e32 v37, v37, v40
	v_add_f32_e32 v38, v38, v41
	;; [unrolled: 1-line block ×4, first 2 shown]
	v_sub_f32_e32 v61, v27, v26
	v_sub_f32_e32 v62, v28, v29
	;; [unrolled: 1-line block ×4, first 2 shown]
	v_mul_f32_e32 v31, 0x3f4a47b2, v31
	v_mul_f32_e32 v40, 0x3d64c772, v35
	v_add_f32_e32 v23, v23, v37
	v_add_f32_e32 v24, v24, v38
	v_sub_f32_e32 v27, v25, v27
	v_sub_f32_e32 v28, v30, v28
	v_add_f32_e32 v25, v44, v25
	v_add_f32_e32 v30, v45, v30
	v_mul_f32_e32 v32, 0x3f4a47b2, v32
	v_mul_f32_e32 v41, 0x3d64c772, v36
	;; [unrolled: 1-line block ×6, first 2 shown]
	v_fma_f32 v40, v42, s12, -v40
	v_fma_f32 v42, v42, s1, -v31
	v_fmac_f32_e32 v31, 0x3d64c772, v35
	v_mov_b32_e32 v35, v23
	v_mov_b32_e32 v68, v24
	v_fma_f32 v41, v43, s12, -v41
	v_fmac_f32_e32 v35, 0xbf955555, v37
	v_fmac_f32_e32 v68, 0xbf955555, v38
	v_fma_f32 v37, v43, s1, -v32
	v_fmac_f32_e32 v32, 0x3d64c772, v36
	v_fma_f32 v36, v26, s0, -v44
	;; [unrolled: 2-line block ×4, first 2 shown]
	v_fma_f32 v61, v28, s13, -v62
	v_add_f32_e32 v62, v31, v35
	v_add_f32_e32 v69, v32, v68
	;; [unrolled: 1-line block ×4, first 2 shown]
	v_fmac_f32_e32 v44, 0x3ee1c552, v25
	v_fmac_f32_e32 v45, 0x3ee1c552, v30
	;; [unrolled: 1-line block ×3, first 2 shown]
	v_add_f32_e32 v32, v41, v68
	v_add_f32_e32 v37, v37, v68
	v_fmac_f32_e32 v36, 0x3ee1c552, v25
	v_fmac_f32_e32 v38, 0x3ee1c552, v30
	;; [unrolled: 1-line block ×3, first 2 shown]
	v_add_f32_e32 v25, v45, v62
	v_sub_f32_e32 v26, v69, v44
	v_add_f32_e32 v27, v61, v35
	v_sub_f32_e32 v35, v35, v61
	v_lshl_add_u32 v68, v33, 3, v65
	v_sub_f32_e32 v28, v37, v43
	v_sub_f32_e32 v29, v31, v38
	v_add_f32_e32 v30, v36, v32
	v_add_f32_e32 v31, v38, v31
	v_sub_f32_e32 v32, v32, v36
	v_add_f32_e32 v36, v43, v37
	v_sub_f32_e32 v37, v62, v45
	v_add_f32_e32 v38, v44, v69
	ds_write2_b64 v68, v[23:24], v[25:26] offset1:6
	ds_write2_b64 v68, v[27:28], v[29:30] offset0:12 offset1:18
	ds_write2_b64 v68, v[31:32], v[35:36] offset0:24 offset1:30
	ds_write_b64 v68, v[37:38] offset:288
	v_lshlrev_b32_e32 v35, 3, v22
	s_waitcnt lgkmcnt(0)
	s_barrier
	global_load_dwordx4 v[30:33], v35, s[4:5] offset:288
	global_load_dwordx4 v[26:29], v35, s[4:5] offset:304
	;; [unrolled: 1-line block ×3, first 2 shown]
	ds_read2_b64 v[35:38], v63 offset1:42
	ds_read2_b64 v[39:42], v63 offset0:84 offset1:126
	ds_read2_b64 v[69:72], v63 offset0:168 offset1:210
	ds_read_b64 v[43:44], v63 offset:2016
	s_waitcnt vmcnt(2) lgkmcnt(3)
	v_mul_f32_e32 v45, v38, v31
	v_mul_f32_e32 v61, v37, v31
	s_waitcnt lgkmcnt(2)
	v_mul_f32_e32 v62, v40, v33
	s_waitcnt vmcnt(1)
	v_mul_f32_e32 v74, v42, v27
	v_mul_f32_e32 v75, v41, v27
	s_waitcnt vmcnt(0) lgkmcnt(1)
	v_mul_f32_e32 v78, v72, v23
	s_waitcnt lgkmcnt(0)
	v_mul_f32_e32 v80, v44, v25
	v_mul_f32_e32 v73, v39, v33
	;; [unrolled: 1-line block ×5, first 2 shown]
	v_fma_f32 v37, v37, v30, -v45
	v_fmac_f32_e32 v61, v38, v30
	v_fma_f32 v38, v39, v32, -v62
	v_fma_f32 v39, v41, v26, -v74
	v_fmac_f32_e32 v75, v42, v26
	v_fma_f32 v41, v71, v22, -v78
	v_fma_f32 v42, v43, v24, -v80
	v_mul_f32_e32 v77, v69, v29
	v_fmac_f32_e32 v73, v40, v32
	v_fma_f32 v40, v69, v28, -v76
	v_fmac_f32_e32 v79, v72, v22
	v_fmac_f32_e32 v81, v44, v24
	v_add_f32_e32 v43, v37, v42
	v_add_f32_e32 v45, v38, v41
	v_fmac_f32_e32 v77, v70, v28
	v_add_f32_e32 v44, v61, v81
	v_sub_f32_e32 v37, v37, v42
	v_sub_f32_e32 v42, v61, v81
	v_add_f32_e32 v61, v73, v79
	v_add_f32_e32 v62, v39, v40
	;; [unrolled: 1-line block ×5, first 2 shown]
	v_sub_f32_e32 v72, v45, v43
	v_sub_f32_e32 v43, v43, v62
	v_sub_f32_e32 v45, v62, v45
	v_add_f32_e32 v62, v62, v70
	v_sub_f32_e32 v38, v38, v41
	v_sub_f32_e32 v41, v73, v79
	v_sub_f32_e32 v39, v40, v39
	v_sub_f32_e32 v40, v77, v75
	v_sub_f32_e32 v73, v61, v44
	v_sub_f32_e32 v44, v44, v69
	v_sub_f32_e32 v61, v69, v61
	v_add_f32_e32 v69, v69, v71
	v_add_f32_e32 v35, v35, v62
	;; [unrolled: 1-line block ×4, first 2 shown]
	v_sub_f32_e32 v76, v39, v38
	v_sub_f32_e32 v77, v40, v41
	;; [unrolled: 1-line block ×4, first 2 shown]
	v_add_f32_e32 v36, v36, v69
	v_mov_b32_e32 v78, v35
	v_sub_f32_e32 v39, v37, v39
	v_sub_f32_e32 v40, v42, v40
	v_add_f32_e32 v37, v74, v37
	v_add_f32_e32 v42, v75, v42
	v_mul_f32_e32 v43, 0x3f4a47b2, v43
	v_mul_f32_e32 v44, 0x3f4a47b2, v44
	;; [unrolled: 1-line block ×8, first 2 shown]
	v_fmac_f32_e32 v78, 0xbf955555, v62
	v_mov_b32_e32 v62, v36
	v_fmac_f32_e32 v62, 0xbf955555, v69
	v_fma_f32 v69, v72, s12, -v70
	v_fma_f32 v70, v73, s12, -v71
	;; [unrolled: 1-line block ×3, first 2 shown]
	v_fmac_f32_e32 v43, 0x3d64c772, v45
	v_fma_f32 v45, v73, s1, -v44
	v_fmac_f32_e32 v44, 0x3d64c772, v61
	v_fma_f32 v61, v38, s0, -v74
	;; [unrolled: 2-line block ×4, first 2 shown]
	v_fma_f32 v76, v40, s13, -v77
	v_add_f32_e32 v77, v43, v78
	v_add_f32_e32 v79, v44, v62
	;; [unrolled: 1-line block ×5, first 2 shown]
	v_fmac_f32_e32 v74, 0x3ee1c552, v37
	v_fmac_f32_e32 v75, 0x3ee1c552, v42
	;; [unrolled: 1-line block ×4, first 2 shown]
	v_add_f32_e32 v44, v70, v62
	v_fmac_f32_e32 v61, 0x3ee1c552, v37
	v_fmac_f32_e32 v72, 0x3ee1c552, v42
	v_add_f32_e32 v37, v75, v77
	v_sub_f32_e32 v38, v79, v74
	v_add_f32_e32 v39, v76, v69
	v_sub_f32_e32 v40, v45, v73
	v_sub_f32_e32 v41, v43, v72
	v_add_f32_e32 v42, v61, v44
	v_add_f32_e32 v43, v72, v43
	v_sub_f32_e32 v44, v44, v61
	v_sub_f32_e32 v69, v69, v76
	v_add_f32_e32 v70, v73, v45
	v_sub_f32_e32 v61, v77, v75
	v_add_f32_e32 v62, v74, v79
	ds_write2_b64 v63, v[35:36], v[37:38] offset1:42
	ds_write2_b64 v63, v[39:40], v[41:42] offset0:84 offset1:126
	ds_write2_b64 v63, v[43:44], v[69:70] offset0:168 offset1:210
	ds_write_b64 v63, v[61:62] offset:2016
	s_waitcnt lgkmcnt(0)
	s_barrier
	global_load_dwordx2 v[39:40], v[46:47], off offset:2352
	global_load_dwordx2 v[43:44], v34, s[6:7] offset:392
	global_load_dwordx2 v[69:70], v34, s[6:7] offset:784
	;; [unrolled: 1-line block ×5, first 2 shown]
	ds_read2_b64 v[35:38], v63 offset1:49
	s_waitcnt vmcnt(5) lgkmcnt(0)
	v_mul_f32_e32 v41, v36, v40
	v_mul_f32_e32 v78, v35, v40
	v_fma_f32 v77, v35, v39, -v41
	v_fmac_f32_e32 v78, v36, v39
	ds_read2_b64 v[39:42], v63 offset0:98 offset1:147
	s_waitcnt vmcnt(4)
	v_mul_f32_e32 v35, v38, v44
	v_mul_f32_e32 v36, v37, v44
	v_fma_f32 v35, v37, v43, -v35
	v_fmac_f32_e32 v36, v38, v43
	ds_write2_b64 v63, v[77:78], v[35:36] offset1:49
	s_waitcnt vmcnt(3) lgkmcnt(1)
	v_mul_f32_e32 v35, v40, v70
	v_fma_f32 v43, v39, v69, -v35
	ds_read2_b64 v[35:38], v63 offset0:196 offset1:245
	v_mul_f32_e32 v44, v39, v70
	v_fmac_f32_e32 v44, v40, v69
	s_waitcnt vmcnt(2)
	v_mul_f32_e32 v39, v42, v72
	v_mul_f32_e32 v40, v41, v72
	v_fma_f32 v39, v41, v71, -v39
	v_fmac_f32_e32 v40, v42, v71
	ds_write2_b64 v63, v[43:44], v[39:40] offset0:98 offset1:147
	s_waitcnt vmcnt(1) lgkmcnt(1)
	v_mul_f32_e32 v39, v36, v74
	v_mul_f32_e32 v40, v35, v74
	v_fma_f32 v39, v35, v73, -v39
	v_fmac_f32_e32 v40, v36, v73
	s_waitcnt vmcnt(0)
	v_mul_f32_e32 v35, v38, v76
	v_mul_f32_e32 v36, v37, v76
	v_fma_f32 v35, v37, v75, -v35
	v_fmac_f32_e32 v36, v38, v75
	ds_write2_b64 v63, v[39:40], v[35:36] offset0:196 offset1:245
	s_and_saveexec_b64 s[4:5], vcc
	s_cbranch_execz .LBB0_9
; %bb.8:
	v_add_co_u32_e64 v38, s[0:1], s6, v34
	v_mov_b32_e32 v34, s7
	v_addc_co_u32_e64 v39, s[0:1], 0, v34, s[0:1]
	global_load_dwordx2 v[40:41], v[38:39], off offset:336
	ds_read2_b64 v[34:37], v63 offset0:42 offset1:91
	v_add_u32_e32 v44, 0x400, v63
	s_waitcnt vmcnt(0) lgkmcnt(0)
	v_mul_f32_e32 v42, v35, v41
	v_mul_f32_e32 v43, v34, v41
	v_fma_f32 v42, v34, v40, -v42
	v_fmac_f32_e32 v43, v35, v40
	global_load_dwordx2 v[34:35], v[38:39], off offset:728
	s_waitcnt vmcnt(0)
	v_mul_f32_e32 v40, v37, v35
	v_mul_f32_e32 v41, v36, v35
	v_fma_f32 v40, v36, v34, -v40
	v_fmac_f32_e32 v41, v37, v34
	ds_write2_b64 v63, v[42:43], v[40:41] offset0:42 offset1:91
	global_load_dwordx2 v[40:41], v[38:39], off offset:1120
	ds_read2_b64 v[34:37], v63 offset0:140 offset1:189
	s_waitcnt vmcnt(0) lgkmcnt(0)
	v_mul_f32_e32 v42, v35, v41
	v_mul_f32_e32 v43, v34, v41
	v_fma_f32 v42, v34, v40, -v42
	v_fmac_f32_e32 v43, v35, v40
	global_load_dwordx2 v[34:35], v[38:39], off offset:1512
	s_waitcnt vmcnt(0)
	v_mul_f32_e32 v40, v37, v35
	v_mul_f32_e32 v41, v36, v35
	v_fma_f32 v40, v36, v34, -v40
	v_fmac_f32_e32 v41, v37, v34
	ds_write2_b64 v63, v[42:43], v[40:41] offset0:140 offset1:189
	global_load_dwordx2 v[40:41], v[38:39], off offset:1904
	ds_read2_b64 v[34:37], v44 offset0:110 offset1:159
	s_waitcnt vmcnt(0) lgkmcnt(0)
	v_mul_f32_e32 v42, v35, v41
	v_mul_f32_e32 v43, v34, v41
	v_fma_f32 v42, v34, v40, -v42
	v_fmac_f32_e32 v43, v35, v40
	global_load_dwordx2 v[34:35], v[38:39], off offset:2296
	s_waitcnt vmcnt(0)
	v_mul_f32_e32 v38, v37, v35
	v_mul_f32_e32 v39, v36, v35
	v_fma_f32 v38, v36, v34, -v38
	v_fmac_f32_e32 v39, v37, v34
	ds_write2_b64 v44, v[42:43], v[38:39] offset0:110 offset1:159
.LBB0_9:
	s_or_b64 exec, exec, s[4:5]
	s_waitcnt lgkmcnt(0)
	s_barrier
	ds_read2_b64 v[34:37], v63 offset1:49
	ds_read2_b64 v[38:41], v63 offset0:98 offset1:147
	ds_read2_b64 v[42:45], v63 offset0:196 offset1:245
	s_and_saveexec_b64 s[0:1], vcc
	s_cbranch_execz .LBB0_11
; %bb.10:
	v_lshl_add_u32 v4, v64, 3, v65
	ds_read2_b64 v[10:13], v4 offset0:91 offset1:140
	ds_read2_b64 v[69:72], v4 offset0:189 offset1:238
	ds_read_b64 v[61:62], v63 offset:336
	ds_read_b64 v[16:17], v4 offset:2296
	s_waitcnt lgkmcnt(3)
	v_mov_b32_e32 v4, v10
	v_mov_b32_e32 v5, v11
	;; [unrolled: 1-line block ×4, first 2 shown]
	s_waitcnt lgkmcnt(2)
	v_mov_b32_e32 v12, v69
	v_mov_b32_e32 v13, v70
	;; [unrolled: 1-line block ×4, first 2 shown]
.LBB0_11:
	s_or_b64 exec, exec, s[0:1]
	s_waitcnt lgkmcnt(0)
	v_add_f32_e32 v70, v38, v42
	v_fma_f32 v70, -0.5, v70, v34
	v_add_f32_e32 v69, v34, v38
	v_sub_f32_e32 v34, v39, v43
	v_mov_b32_e32 v71, v70
	v_fmac_f32_e32 v71, 0xbf5db3d7, v34
	v_fmac_f32_e32 v70, 0x3f5db3d7, v34
	v_add_f32_e32 v34, v35, v39
	v_add_f32_e32 v72, v34, v43
	;; [unrolled: 1-line block ×3, first 2 shown]
	v_fma_f32 v73, -0.5, v34, v35
	v_sub_f32_e32 v34, v38, v42
	v_mov_b32_e32 v43, v73
	v_fmac_f32_e32 v43, 0x3f5db3d7, v34
	v_fmac_f32_e32 v73, 0xbf5db3d7, v34
	v_add_f32_e32 v34, v36, v40
	v_add_f32_e32 v69, v69, v42
	;; [unrolled: 1-line block ×4, first 2 shown]
	v_fma_f32 v35, -0.5, v34, v36
	v_sub_f32_e32 v34, v41, v45
	v_mov_b32_e32 v36, v35
	v_fmac_f32_e32 v36, 0xbf5db3d7, v34
	v_fmac_f32_e32 v35, 0x3f5db3d7, v34
	v_add_f32_e32 v34, v37, v41
	v_add_f32_e32 v74, v34, v45
	;; [unrolled: 1-line block ×3, first 2 shown]
	v_fmac_f32_e32 v37, -0.5, v34
	v_sub_f32_e32 v34, v40, v44
	v_mov_b32_e32 v41, v37
	v_fmac_f32_e32 v41, 0x3f5db3d7, v34
	v_fmac_f32_e32 v37, 0xbf5db3d7, v34
	v_mul_f32_e32 v44, 0xbf5db3d7, v41
	v_mul_f32_e32 v75, 0.5, v41
	v_fmac_f32_e32 v44, 0.5, v36
	v_mul_f32_e32 v45, 0xbf5db3d7, v37
	v_fmac_f32_e32 v75, 0x3f5db3d7, v36
	v_mul_f32_e32 v76, -0.5, v37
	v_add_f32_e32 v38, v69, v42
	v_add_f32_e32 v40, v71, v44
	v_fmac_f32_e32 v45, -0.5, v35
	v_add_f32_e32 v39, v72, v74
	v_add_f32_e32 v41, v43, v75
	v_fmac_f32_e32 v76, 0x3f5db3d7, v35
	v_add_f32_e32 v34, v70, v45
	v_add_f32_e32 v35, v73, v76
	v_sub_f32_e32 v36, v69, v42
	v_sub_f32_e32 v42, v71, v44
	;; [unrolled: 1-line block ×6, first 2 shown]
	s_barrier
	ds_write_b128 v67, v[38:41]
	ds_write_b128 v67, v[34:37] offset:16
	ds_write_b128 v67, v[42:45] offset:32
	s_and_saveexec_b64 s[0:1], vcc
	s_cbranch_execz .LBB0_13
; %bb.12:
	v_add_f32_e32 v34, v11, v15
	v_add_f32_e32 v37, v13, v17
	v_fma_f32 v38, -0.5, v34, v62
	v_add_f32_e32 v35, v12, v16
	v_fma_f32 v41, -0.5, v37, v5
	v_sub_f32_e32 v42, v12, v16
	v_add_f32_e32 v5, v5, v13
	v_sub_f32_e32 v34, v10, v14
	v_mov_b32_e32 v39, v38
	v_fma_f32 v40, -0.5, v35, v4
	v_sub_f32_e32 v35, v13, v17
	v_mov_b32_e32 v43, v41
	v_fmac_f32_e32 v41, 0x3f5db3d7, v42
	v_add_f32_e32 v5, v5, v17
	v_add_f32_e32 v17, v10, v14
	v_fmac_f32_e32 v39, 0xbf5db3d7, v34
	v_mov_b32_e32 v36, v40
	v_fmac_f32_e32 v43, 0xbf5db3d7, v42
	v_fmac_f32_e32 v38, 0x3f5db3d7, v34
	;; [unrolled: 1-line block ×3, first 2 shown]
	v_mul_f32_e32 v42, 0.5, v41
	v_add_f32_e32 v34, v62, v11
	v_fma_f32 v62, -0.5, v17, v61
	v_sub_f32_e32 v11, v11, v15
	v_mul_f32_e32 v41, 0xbf5db3d7, v41
	v_add_f32_e32 v10, v61, v10
	v_add_f32_e32 v4, v4, v12
	v_fmac_f32_e32 v36, 0x3f5db3d7, v35
	v_mul_f32_e32 v44, -0.5, v43
	v_fmac_f32_e32 v42, 0x3f5db3d7, v40
	v_add_f32_e32 v45, v34, v15
	v_mov_b32_e32 v67, v62
	v_mul_f32_e32 v43, 0xbf5db3d7, v43
	v_fmac_f32_e32 v62, 0xbf5db3d7, v11
	v_fmac_f32_e32 v41, 0.5, v40
	v_add_f32_e32 v14, v10, v14
	v_add_f32_e32 v4, v4, v16
	v_fmac_f32_e32 v44, 0x3f5db3d7, v36
	v_fmac_f32_e32 v67, 0x3f5db3d7, v11
	v_fmac_f32_e32 v43, -0.5, v36
	v_sub_f32_e32 v12, v14, v4
	v_add_f32_e32 v17, v38, v42
	v_add_f32_e32 v15, v45, v5
	;; [unrolled: 1-line block ×4, first 2 shown]
	v_lshl_add_u32 v4, v66, 3, v65
	v_sub_f32_e32 v37, v39, v44
	v_sub_f32_e32 v35, v38, v42
	;; [unrolled: 1-line block ×5, first 2 shown]
	v_add_f32_e32 v11, v39, v44
	v_add_f32_e32 v10, v67, v43
	ds_write_b128 v4, v[14:17]
	ds_write_b128 v4, v[10:13] offset:16
	ds_write_b128 v4, v[34:37] offset:32
.LBB0_13:
	s_or_b64 exec, exec, s[0:1]
	s_waitcnt lgkmcnt(0)
	s_barrier
	ds_read2_b64 v[10:13], v63 offset1:42
	ds_read2_b64 v[14:17], v63 offset0:84 offset1:126
	ds_read2_b64 v[34:37], v63 offset0:168 offset1:210
	ds_read_b64 v[4:5], v63 offset:2016
	s_mov_b32 s4, 0xbf5ff5aa
	s_waitcnt lgkmcnt(3)
	v_mul_f32_e32 v38, v19, v13
	v_fmac_f32_e32 v38, v18, v12
	v_mul_f32_e32 v12, v19, v12
	v_fma_f32 v12, v18, v13, -v12
	s_waitcnt lgkmcnt(2)
	v_mul_f32_e32 v13, v21, v15
	v_fmac_f32_e32 v13, v20, v14
	v_mul_f32_e32 v14, v21, v14
	v_fma_f32 v14, v20, v15, -v14
	v_mul_f32_e32 v15, v7, v17
	v_mul_f32_e32 v7, v7, v16
	v_fmac_f32_e32 v15, v6, v16
	v_fma_f32 v6, v6, v17, -v7
	s_waitcnt lgkmcnt(1)
	v_mul_f32_e32 v7, v9, v35
	v_mul_f32_e32 v9, v9, v34
	v_fmac_f32_e32 v7, v8, v34
	v_fma_f32 v8, v8, v35, -v9
	v_mul_f32_e32 v9, v1, v37
	v_mul_f32_e32 v1, v1, v36
	v_fmac_f32_e32 v9, v0, v36
	v_fma_f32 v0, v0, v37, -v1
	s_waitcnt lgkmcnt(0)
	v_mul_f32_e32 v1, v3, v5
	v_fmac_f32_e32 v1, v2, v4
	v_mul_f32_e32 v3, v3, v4
	v_fma_f32 v2, v2, v5, -v3
	v_add_f32_e32 v3, v38, v1
	v_add_f32_e32 v5, v13, v9
	;; [unrolled: 1-line block ×3, first 2 shown]
	v_sub_f32_e32 v2, v12, v2
	v_add_f32_e32 v12, v14, v0
	v_sub_f32_e32 v9, v13, v9
	v_sub_f32_e32 v0, v14, v0
	v_add_f32_e32 v13, v15, v7
	v_add_f32_e32 v14, v6, v8
	v_sub_f32_e32 v6, v8, v6
	v_add_f32_e32 v8, v5, v3
	v_sub_f32_e32 v7, v7, v15
	v_add_f32_e32 v15, v12, v4
	v_add_f32_e32 v8, v13, v8
	v_sub_f32_e32 v1, v38, v1
	v_sub_f32_e32 v16, v5, v3
	;; [unrolled: 1-line block ×4, first 2 shown]
	v_add_f32_e32 v18, v7, v9
	v_add_f32_e32 v19, v6, v0
	v_sub_f32_e32 v21, v6, v0
	v_sub_f32_e32 v34, v0, v2
	v_add_f32_e32 v13, v14, v15
	v_add_f32_e32 v0, v10, v8
	v_sub_f32_e32 v17, v12, v4
	v_sub_f32_e32 v4, v4, v14
	;; [unrolled: 1-line block ×6, first 2 shown]
	v_add_f32_e32 v14, v18, v1
	v_add_f32_e32 v1, v11, v13
	v_mul_f32_e32 v18, 0x3f08b237, v21
	v_mov_b32_e32 v21, v0
	v_sub_f32_e32 v6, v2, v6
	v_mul_f32_e32 v3, 0x3f4a47b2, v3
	v_mul_f32_e32 v4, 0x3f4a47b2, v4
	;; [unrolled: 1-line block ×3, first 2 shown]
	v_fmac_f32_e32 v21, 0xbf955555, v8
	v_mov_b32_e32 v8, v1
	s_mov_b32 s6, 0xbf3bfb3b
	v_add_f32_e32 v2, v19, v2
	v_mul_f32_e32 v10, 0x3d64c772, v5
	v_mul_f32_e32 v11, 0x3d64c772, v12
	;; [unrolled: 1-line block ×4, first 2 shown]
	v_fmac_f32_e32 v8, 0xbf955555, v13
	s_mov_b32 s5, 0x3f3bfb3b
	v_fma_f32 v13, v16, s6, -v3
	v_fmac_f32_e32 v3, 0x3d64c772, v5
	v_fma_f32 v5, v17, s6, -v4
	v_fmac_f32_e32 v4, 0x3d64c772, v12
	;; [unrolled: 2-line block ×4, first 2 shown]
	s_mov_b32 s7, 0x3eae86e6
	v_fma_f32 v10, v16, s5, -v10
	v_fma_f32 v11, v17, s5, -v11
	;; [unrolled: 1-line block ×4, first 2 shown]
	v_add_f32_e32 v19, v3, v21
	v_add_f32_e32 v20, v4, v8
	v_fmac_f32_e32 v15, 0xbee1c552, v14
	v_fmac_f32_e32 v18, 0xbee1c552, v2
	v_add_f32_e32 v10, v10, v21
	v_add_f32_e32 v11, v11, v8
	v_add_f32_e32 v13, v13, v21
	v_add_f32_e32 v21, v5, v8
	v_fmac_f32_e32 v9, 0xbee1c552, v14
	v_fmac_f32_e32 v12, 0xbee1c552, v2
	;; [unrolled: 1-line block ×4, first 2 shown]
	v_add_f32_e32 v2, v18, v19
	v_sub_f32_e32 v3, v20, v15
	v_add_f32_e32 v4, v17, v13
	v_sub_f32_e32 v5, v21, v16
	v_sub_f32_e32 v6, v10, v12
	v_add_f32_e32 v7, v9, v11
	v_add_f32_e32 v8, v12, v10
	v_sub_f32_e32 v9, v11, v9
	v_sub_f32_e32 v10, v13, v17
	v_add_f32_e32 v11, v16, v21
	v_sub_f32_e32 v12, v19, v18
	v_add_f32_e32 v13, v15, v20
	s_barrier
	ds_write2_b64 v68, v[0:1], v[2:3] offset1:6
	ds_write2_b64 v68, v[4:5], v[6:7] offset0:12 offset1:18
	ds_write2_b64 v68, v[8:9], v[10:11] offset0:24 offset1:30
	ds_write_b64 v68, v[12:13] offset:288
	s_waitcnt lgkmcnt(0)
	s_barrier
	ds_read2_b64 v[0:3], v63 offset1:42
	ds_read2_b64 v[4:7], v63 offset0:84 offset1:126
	ds_read2_b64 v[8:11], v63 offset0:168 offset1:210
	ds_read_b64 v[14:15], v63 offset:2016
	v_mad_u64_u32 v[12:13], s[0:1], s10, v48, 0
	s_waitcnt lgkmcnt(3)
	v_mul_f32_e32 v16, v31, v3
	v_fmac_f32_e32 v16, v30, v2
	v_mul_f32_e32 v2, v31, v2
	v_fma_f32 v2, v30, v3, -v2
	s_waitcnt lgkmcnt(2)
	v_mul_f32_e32 v3, v33, v5
	v_fmac_f32_e32 v3, v32, v4
	v_mul_f32_e32 v4, v33, v4
	v_fma_f32 v4, v32, v5, -v4
	v_mul_f32_e32 v5, v27, v7
	v_fmac_f32_e32 v5, v26, v6
	v_mul_f32_e32 v6, v27, v6
	v_fma_f32 v6, v26, v7, -v6
	s_waitcnt lgkmcnt(1)
	v_mul_f32_e32 v7, v29, v9
	v_fmac_f32_e32 v7, v28, v8
	v_mul_f32_e32 v8, v29, v8
	v_fma_f32 v8, v28, v9, -v8
	v_mul_f32_e32 v9, v23, v11
	v_fmac_f32_e32 v9, v22, v10
	v_mul_f32_e32 v10, v23, v10
	v_fma_f32 v10, v22, v11, -v10
	s_waitcnt lgkmcnt(0)
	v_mul_f32_e32 v11, v25, v15
	v_fmac_f32_e32 v11, v24, v14
	v_mul_f32_e32 v14, v25, v14
	v_fma_f32 v14, v24, v15, -v14
	v_add_f32_e32 v15, v16, v11
	v_add_f32_e32 v17, v2, v14
	v_sub_f32_e32 v2, v2, v14
	v_add_f32_e32 v14, v3, v9
	v_sub_f32_e32 v11, v16, v11
	;; [unrolled: 2-line block ×6, first 2 shown]
	v_add_f32_e32 v8, v16, v17
	v_add_f32_e32 v7, v9, v7
	;; [unrolled: 1-line block ×4, first 2 shown]
	v_sub_f32_e32 v18, v14, v15
	v_sub_f32_e32 v19, v16, v17
	;; [unrolled: 1-line block ×6, first 2 shown]
	v_add_f32_e32 v20, v5, v3
	v_add_f32_e32 v21, v6, v4
	v_sub_f32_e32 v22, v5, v3
	v_sub_f32_e32 v23, v6, v4
	v_add_f32_e32 v1, v1, v8
	v_mov_b32_e32 v24, v0
	v_sub_f32_e32 v5, v11, v5
	v_sub_f32_e32 v6, v2, v6
	;; [unrolled: 1-line block ×4, first 2 shown]
	v_add_f32_e32 v9, v20, v11
	v_add_f32_e32 v2, v21, v2
	v_mul_f32_e32 v10, 0x3f4a47b2, v15
	v_mul_f32_e32 v11, 0x3f4a47b2, v17
	;; [unrolled: 1-line block ×6, first 2 shown]
	v_fmac_f32_e32 v24, 0xbf955555, v7
	v_mov_b32_e32 v7, v1
	v_mul_f32_e32 v22, 0xbf5ff5aa, v3
	v_mul_f32_e32 v23, 0xbf5ff5aa, v4
	v_fmac_f32_e32 v7, 0xbf955555, v8
	v_fma_f32 v8, v18, s5, -v15
	v_fma_f32 v15, v19, s5, -v17
	;; [unrolled: 1-line block ×3, first 2 shown]
	v_fmac_f32_e32 v10, 0x3d64c772, v14
	v_fma_f32 v14, v19, s6, -v11
	v_fmac_f32_e32 v11, 0x3d64c772, v16
	v_fma_f32 v16, v3, s4, -v20
	;; [unrolled: 2-line block ×4, first 2 shown]
	v_fma_f32 v22, v6, s7, -v23
	v_add_f32_e32 v23, v10, v24
	v_add_f32_e32 v25, v11, v7
	v_fmac_f32_e32 v20, 0xbee1c552, v9
	v_fmac_f32_e32 v21, 0xbee1c552, v2
	v_add_f32_e32 v8, v8, v24
	v_add_f32_e32 v10, v15, v7
	v_add_f32_e32 v11, v17, v24
	v_add_f32_e32 v14, v14, v7
	v_fmac_f32_e32 v16, 0xbee1c552, v9
	v_fmac_f32_e32 v18, 0xbee1c552, v2
	;; [unrolled: 1-line block ×4, first 2 shown]
	v_add_f32_e32 v2, v21, v23
	v_sub_f32_e32 v3, v25, v20
	v_add_f32_e32 v4, v22, v11
	v_sub_f32_e32 v5, v14, v19
	v_sub_f32_e32 v6, v8, v18
	v_add_f32_e32 v7, v16, v10
	v_add_f32_e32 v8, v18, v8
	v_sub_f32_e32 v9, v10, v16
	v_sub_f32_e32 v10, v11, v22
	v_add_f32_e32 v11, v19, v14
	v_sub_f32_e32 v14, v23, v21
	v_add_f32_e32 v15, v20, v25
	ds_write2_b64 v63, v[0:1], v[2:3] offset1:42
	ds_write2_b64 v63, v[4:5], v[6:7] offset0:84 offset1:126
	ds_write2_b64 v63, v[8:9], v[10:11] offset0:168 offset1:210
	ds_write_b64 v63, v[14:15] offset:2016
	s_waitcnt lgkmcnt(0)
	s_barrier
	ds_read2_b64 v[0:3], v63 offset1:49
	s_mov_b32 s4, 0x899406f7
	s_mov_b32 s5, 0x3f6bdd2b
	v_mad_u64_u32 v[7:8], s[0:1], s8, v64, 0
	s_waitcnt lgkmcnt(0)
	v_mul_f32_e32 v5, v58, v1
	v_fmac_f32_e32 v5, v57, v0
	v_cvt_f64_f32_e32 v[5:6], v5
	v_mul_f32_e32 v0, v58, v0
	v_fma_f32 v0, v57, v1, -v0
	v_cvt_f64_f32_e32 v[0:1], v0
	v_mul_f64 v[5:6], v[5:6], s[4:5]
	v_mov_b32_e32 v4, v13
	v_mul_f64 v[0:1], v[0:1], s[4:5]
	v_mad_u64_u32 v[9:10], s[0:1], s11, v48, v[4:5]
	v_mov_b32_e32 v4, v8
	v_mad_u64_u32 v[10:11], s[0:1], s9, v64, v[4:5]
	v_mov_b32_e32 v13, v9
	v_mul_f32_e32 v9, v60, v3
	v_fmac_f32_e32 v9, v59, v2
	v_mul_f32_e32 v2, v60, v2
	v_fma_f32 v2, v59, v3, -v2
	v_mov_b32_e32 v8, v10
	v_cvt_f64_f32_e32 v[9:10], v9
	v_cvt_f64_f32_e32 v[2:3], v2
	v_cvt_f32_f64_e32 v4, v[5:6]
	v_cvt_f32_f64_e32 v5, v[0:1]
	v_lshlrev_b64 v[0:1], 3, v[12:13]
	v_mov_b32_e32 v6, s3
	v_add_co_u32_e64 v11, s[0:1], s2, v0
	v_addc_co_u32_e64 v12, s[0:1], v6, v1, s[0:1]
	v_mul_f64 v[0:1], v[9:10], s[4:5]
	v_mul_f64 v[2:3], v[2:3], s[4:5]
	v_lshlrev_b64 v[6:7], 3, v[7:8]
	v_add_co_u32_e64 v6, s[0:1], v11, v6
	v_addc_co_u32_e64 v7, s[0:1], v12, v7, s[0:1]
	global_store_dwordx2 v[6:7], v[4:5], off
	v_cvt_f32_f64_e32 v4, v[0:1]
	v_cvt_f32_f64_e32 v5, v[2:3]
	ds_read2_b64 v[0:3], v63 offset0:98 offset1:147
	s_mul_i32 s0, s9, 49
	s_mul_hi_u32 s1, s8, 49
	s_add_i32 s1, s1, s0
	s_mul_i32 s0, s8, 49
	s_waitcnt lgkmcnt(0)
	v_mul_f32_e32 v8, v56, v1
	v_fmac_f32_e32 v8, v55, v0
	v_mul_f32_e32 v0, v56, v0
	v_cvt_f64_f32_e32 v[8:9], v8
	v_fma_f32 v0, v55, v1, -v0
	s_lshl_b64 s[2:3], s[0:1], 3
	v_cvt_f64_f32_e32 v[0:1], v0
	v_mov_b32_e32 v12, s3
	v_add_co_u32_e64 v6, s[0:1], s2, v6
	v_addc_co_u32_e64 v7, s[0:1], v7, v12, s[0:1]
	global_store_dwordx2 v[6:7], v[4:5], off
	v_mul_f64 v[4:5], v[8:9], s[4:5]
	v_mul_f32_e32 v8, v54, v3
	v_mul_f64 v[0:1], v[0:1], s[4:5]
	v_fmac_f32_e32 v8, v53, v2
	v_cvt_f64_f32_e32 v[8:9], v8
	v_mul_f32_e32 v2, v54, v2
	v_fma_f32 v2, v53, v3, -v2
	v_cvt_f64_f32_e32 v[2:3], v2
	v_mul_f64 v[8:9], v[8:9], s[4:5]
	v_cvt_f32_f64_e32 v4, v[4:5]
	v_cvt_f32_f64_e32 v5, v[0:1]
	v_mul_f64 v[10:11], v[2:3], s[4:5]
	ds_read2_b64 v[0:3], v63 offset0:196 offset1:245
	v_add_co_u32_e64 v6, s[0:1], s2, v6
	v_addc_co_u32_e64 v7, s[0:1], v7, v12, s[0:1]
	global_store_dwordx2 v[6:7], v[4:5], off
	v_cvt_f32_f64_e32 v4, v[8:9]
	s_waitcnt lgkmcnt(0)
	v_mul_f32_e32 v8, v52, v1
	v_fmac_f32_e32 v8, v51, v0
	v_cvt_f64_f32_e32 v[8:9], v8
	v_mul_f32_e32 v0, v52, v0
	v_fma_f32 v0, v51, v1, -v0
	v_cvt_f64_f32_e32 v[0:1], v0
	v_mul_f64 v[8:9], v[8:9], s[4:5]
	v_cvt_f32_f64_e32 v5, v[10:11]
	v_mul_f32_e32 v10, v50, v3
	v_fmac_f32_e32 v10, v49, v2
	v_mul_f32_e32 v2, v50, v2
	v_fma_f32 v2, v49, v3, -v2
	v_mul_f64 v[0:1], v[0:1], s[4:5]
	v_cvt_f64_f32_e32 v[10:11], v10
	v_cvt_f64_f32_e32 v[2:3], v2
	v_add_co_u32_e64 v6, s[0:1], s2, v6
	v_addc_co_u32_e64 v7, s[0:1], v7, v12, s[0:1]
	global_store_dwordx2 v[6:7], v[4:5], off
	v_cvt_f32_f64_e32 v4, v[8:9]
	v_mul_f64 v[8:9], v[10:11], s[4:5]
	v_mul_f64 v[2:3], v[2:3], s[4:5]
	v_cvt_f32_f64_e32 v5, v[0:1]
	v_add_co_u32_e64 v0, s[0:1], s2, v6
	v_addc_co_u32_e64 v1, s[0:1], v7, v12, s[0:1]
	global_store_dwordx2 v[0:1], v[4:5], off
	v_cvt_f32_f64_e32 v4, v[8:9]
	v_cvt_f32_f64_e32 v5, v[2:3]
	v_add_co_u32_e64 v0, s[0:1], s2, v0
	v_addc_co_u32_e64 v1, s[0:1], v1, v12, s[0:1]
	global_store_dwordx2 v[0:1], v[4:5], off
	s_and_b64 exec, exec, vcc
	s_cbranch_execz .LBB0_15
; %bb.14:
	global_load_dwordx2 v[14:15], v[46:47], off offset:336
	global_load_dwordx2 v[16:17], v[46:47], off offset:728
	;; [unrolled: 1-line block ×6, first 2 shown]
	ds_read2_b64 v[2:5], v63 offset0:42 offset1:91
	v_mov_b32_e32 v10, 0xfffff9a8
	v_mad_u64_u32 v[0:1], s[0:1], s8, v10, v[0:1]
	v_add_u32_e32 v10, 0x400, v63
	ds_read2_b64 v[6:9], v63 offset0:140 offset1:189
	ds_read2_b64 v[10:13], v10 offset0:110 offset1:159
	s_mul_i32 s6, s9, 0xfffff9a8
	s_sub_i32 s0, s6, s8
	v_mov_b32_e32 v34, s3
	v_add_u32_e32 v1, s0, v1
	v_add_co_u32_e32 v26, vcc, s2, v0
	v_addc_co_u32_e32 v27, vcc, v1, v34, vcc
	v_add_co_u32_e32 v28, vcc, s2, v26
	v_addc_co_u32_e32 v29, vcc, v27, v34, vcc
	;; [unrolled: 2-line block ×4, first 2 shown]
	s_waitcnt vmcnt(5) lgkmcnt(2)
	v_mul_f32_e32 v35, v3, v15
	v_mul_f32_e32 v15, v2, v15
	s_waitcnt vmcnt(4)
	v_mul_f32_e32 v36, v5, v17
	v_mul_f32_e32 v17, v4, v17
	v_fmac_f32_e32 v35, v2, v14
	v_fma_f32 v14, v14, v3, -v15
	s_waitcnt vmcnt(3) lgkmcnt(1)
	v_mul_f32_e32 v37, v7, v19
	v_mul_f32_e32 v19, v6, v19
	s_waitcnt vmcnt(2)
	v_mul_f32_e32 v38, v9, v21
	v_mul_f32_e32 v21, v8, v21
	s_waitcnt vmcnt(0) lgkmcnt(0)
	v_mul_f32_e32 v40, v13, v25
	v_mul_f32_e32 v25, v12, v25
	v_fmac_f32_e32 v36, v4, v16
	v_fma_f32 v15, v16, v5, -v17
	v_cvt_f64_f32_e32 v[2:3], v35
	v_cvt_f64_f32_e32 v[4:5], v14
	v_mul_f32_e32 v39, v11, v23
	v_mul_f32_e32 v23, v10, v23
	v_fmac_f32_e32 v37, v6, v18
	v_fma_f32 v16, v18, v7, -v19
	v_fmac_f32_e32 v38, v8, v20
	v_fma_f32 v17, v20, v9, -v21
	v_fmac_f32_e32 v40, v12, v24
	v_fma_f32 v24, v24, v13, -v25
	v_cvt_f64_f32_e32 v[6:7], v36
	v_cvt_f64_f32_e32 v[8:9], v15
	v_fmac_f32_e32 v39, v10, v22
	v_fma_f32 v20, v22, v11, -v23
	v_cvt_f64_f32_e32 v[10:11], v37
	v_cvt_f64_f32_e32 v[12:13], v16
	;; [unrolled: 1-line block ×8, first 2 shown]
	v_mul_f64 v[2:3], v[2:3], s[4:5]
	v_mul_f64 v[4:5], v[4:5], s[4:5]
	;; [unrolled: 1-line block ×12, first 2 shown]
	v_cvt_f32_f64_e32 v2, v[2:3]
	v_cvt_f32_f64_e32 v3, v[4:5]
	;; [unrolled: 1-line block ×12, first 2 shown]
	global_store_dwordx2 v[0:1], v[2:3], off
	global_store_dwordx2 v[26:27], v[4:5], off
	;; [unrolled: 1-line block ×5, first 2 shown]
	v_add_co_u32_e32 v0, vcc, s2, v32
	v_addc_co_u32_e32 v1, vcc, v33, v34, vcc
	global_store_dwordx2 v[0:1], v[12:13], off
.LBB0_15:
	s_endpgm
	.section	.rodata,"a",@progbits
	.p2align	6, 0x0
	.amdhsa_kernel bluestein_single_back_len294_dim1_sp_op_CI_CI
		.amdhsa_group_segment_fixed_size 7056
		.amdhsa_private_segment_fixed_size 0
		.amdhsa_kernarg_size 104
		.amdhsa_user_sgpr_count 6
		.amdhsa_user_sgpr_private_segment_buffer 1
		.amdhsa_user_sgpr_dispatch_ptr 0
		.amdhsa_user_sgpr_queue_ptr 0
		.amdhsa_user_sgpr_kernarg_segment_ptr 1
		.amdhsa_user_sgpr_dispatch_id 0
		.amdhsa_user_sgpr_flat_scratch_init 0
		.amdhsa_user_sgpr_private_segment_size 0
		.amdhsa_uses_dynamic_stack 0
		.amdhsa_system_sgpr_private_segment_wavefront_offset 0
		.amdhsa_system_sgpr_workgroup_id_x 1
		.amdhsa_system_sgpr_workgroup_id_y 0
		.amdhsa_system_sgpr_workgroup_id_z 0
		.amdhsa_system_sgpr_workgroup_info 0
		.amdhsa_system_vgpr_workitem_id 0
		.amdhsa_next_free_vgpr 82
		.amdhsa_next_free_sgpr 18
		.amdhsa_reserve_vcc 1
		.amdhsa_reserve_flat_scratch 0
		.amdhsa_float_round_mode_32 0
		.amdhsa_float_round_mode_16_64 0
		.amdhsa_float_denorm_mode_32 3
		.amdhsa_float_denorm_mode_16_64 3
		.amdhsa_dx10_clamp 1
		.amdhsa_ieee_mode 1
		.amdhsa_fp16_overflow 0
		.amdhsa_exception_fp_ieee_invalid_op 0
		.amdhsa_exception_fp_denorm_src 0
		.amdhsa_exception_fp_ieee_div_zero 0
		.amdhsa_exception_fp_ieee_overflow 0
		.amdhsa_exception_fp_ieee_underflow 0
		.amdhsa_exception_fp_ieee_inexact 0
		.amdhsa_exception_int_div_zero 0
	.end_amdhsa_kernel
	.text
.Lfunc_end0:
	.size	bluestein_single_back_len294_dim1_sp_op_CI_CI, .Lfunc_end0-bluestein_single_back_len294_dim1_sp_op_CI_CI
                                        ; -- End function
	.section	.AMDGPU.csdata,"",@progbits
; Kernel info:
; codeLenInByte = 6908
; NumSgprs: 22
; NumVgprs: 82
; ScratchSize: 0
; MemoryBound: 0
; FloatMode: 240
; IeeeMode: 1
; LDSByteSize: 7056 bytes/workgroup (compile time only)
; SGPRBlocks: 2
; VGPRBlocks: 20
; NumSGPRsForWavesPerEU: 22
; NumVGPRsForWavesPerEU: 82
; Occupancy: 3
; WaveLimiterHint : 1
; COMPUTE_PGM_RSRC2:SCRATCH_EN: 0
; COMPUTE_PGM_RSRC2:USER_SGPR: 6
; COMPUTE_PGM_RSRC2:TRAP_HANDLER: 0
; COMPUTE_PGM_RSRC2:TGID_X_EN: 1
; COMPUTE_PGM_RSRC2:TGID_Y_EN: 0
; COMPUTE_PGM_RSRC2:TGID_Z_EN: 0
; COMPUTE_PGM_RSRC2:TIDIG_COMP_CNT: 0
	.type	__hip_cuid_fad9491bd93c124b,@object ; @__hip_cuid_fad9491bd93c124b
	.section	.bss,"aw",@nobits
	.globl	__hip_cuid_fad9491bd93c124b
__hip_cuid_fad9491bd93c124b:
	.byte	0                               ; 0x0
	.size	__hip_cuid_fad9491bd93c124b, 1

	.ident	"AMD clang version 19.0.0git (https://github.com/RadeonOpenCompute/llvm-project roc-6.4.0 25133 c7fe45cf4b819c5991fe208aaa96edf142730f1d)"
	.section	".note.GNU-stack","",@progbits
	.addrsig
	.addrsig_sym __hip_cuid_fad9491bd93c124b
	.amdgpu_metadata
---
amdhsa.kernels:
  - .args:
      - .actual_access:  read_only
        .address_space:  global
        .offset:         0
        .size:           8
        .value_kind:     global_buffer
      - .actual_access:  read_only
        .address_space:  global
        .offset:         8
        .size:           8
        .value_kind:     global_buffer
      - .actual_access:  read_only
        .address_space:  global
        .offset:         16
        .size:           8
        .value_kind:     global_buffer
      - .actual_access:  read_only
        .address_space:  global
        .offset:         24
        .size:           8
        .value_kind:     global_buffer
      - .actual_access:  read_only
        .address_space:  global
        .offset:         32
        .size:           8
        .value_kind:     global_buffer
      - .offset:         40
        .size:           8
        .value_kind:     by_value
      - .address_space:  global
        .offset:         48
        .size:           8
        .value_kind:     global_buffer
      - .address_space:  global
        .offset:         56
        .size:           8
        .value_kind:     global_buffer
      - .address_space:  global
        .offset:         64
        .size:           8
        .value_kind:     global_buffer
      - .address_space:  global
        .offset:         72
        .size:           8
        .value_kind:     global_buffer
      - .offset:         80
        .size:           4
        .value_kind:     by_value
      - .address_space:  global
        .offset:         88
        .size:           8
        .value_kind:     global_buffer
      - .address_space:  global
        .offset:         96
        .size:           8
        .value_kind:     global_buffer
    .group_segment_fixed_size: 7056
    .kernarg_segment_align: 8
    .kernarg_segment_size: 104
    .language:       OpenCL C
    .language_version:
      - 2
      - 0
    .max_flat_workgroup_size: 126
    .name:           bluestein_single_back_len294_dim1_sp_op_CI_CI
    .private_segment_fixed_size: 0
    .sgpr_count:     22
    .sgpr_spill_count: 0
    .symbol:         bluestein_single_back_len294_dim1_sp_op_CI_CI.kd
    .uniform_work_group_size: 1
    .uses_dynamic_stack: false
    .vgpr_count:     82
    .vgpr_spill_count: 0
    .wavefront_size: 64
amdhsa.target:   amdgcn-amd-amdhsa--gfx906
amdhsa.version:
  - 1
  - 2
...

	.end_amdgpu_metadata
